;; amdgpu-corpus repo=ROCm/rocFFT kind=compiled arch=gfx906 opt=O3
	.text
	.amdgcn_target "amdgcn-amd-amdhsa--gfx906"
	.amdhsa_code_object_version 6
	.protected	fft_rtc_back_len231_factors_11_7_3_wgs_231_tpt_33_half_ip_CI_unitstride_sbrr_dirReg ; -- Begin function fft_rtc_back_len231_factors_11_7_3_wgs_231_tpt_33_half_ip_CI_unitstride_sbrr_dirReg
	.globl	fft_rtc_back_len231_factors_11_7_3_wgs_231_tpt_33_half_ip_CI_unitstride_sbrr_dirReg
	.p2align	8
	.type	fft_rtc_back_len231_factors_11_7_3_wgs_231_tpt_33_half_ip_CI_unitstride_sbrr_dirReg,@function
fft_rtc_back_len231_factors_11_7_3_wgs_231_tpt_33_half_ip_CI_unitstride_sbrr_dirReg: ; @fft_rtc_back_len231_factors_11_7_3_wgs_231_tpt_33_half_ip_CI_unitstride_sbrr_dirReg
; %bb.0:
	s_load_dwordx2 s[12:13], s[4:5], 0x50
	s_load_dwordx4 s[8:11], s[4:5], 0x0
	s_load_dwordx2 s[2:3], s[4:5], 0x18
	v_mul_u32_u24_e32 v1, 0x7c2, v0
	v_lshrrev_b32_e32 v1, 16, v1
	v_mad_u64_u32 v[1:2], s[0:1], s6, 7, v[1:2]
	v_mov_b32_e32 v5, 0
	s_waitcnt lgkmcnt(0)
	v_cmp_lt_u64_e64 s[0:1], s[10:11], 2
	v_mov_b32_e32 v2, v5
	v_mov_b32_e32 v3, 0
	;; [unrolled: 1-line block ×3, first 2 shown]
	s_and_b64 vcc, exec, s[0:1]
	v_mov_b32_e32 v4, 0
	v_mov_b32_e32 v9, v1
	s_cbranch_vccnz .LBB0_8
; %bb.1:
	s_load_dwordx2 s[0:1], s[4:5], 0x10
	s_add_u32 s6, s2, 8
	s_addc_u32 s7, s3, 0
	v_mov_b32_e32 v3, 0
	v_mov_b32_e32 v8, v2
	s_waitcnt lgkmcnt(0)
	s_add_u32 s16, s0, 8
	s_mov_b64 s[14:15], 1
	v_mov_b32_e32 v4, 0
	s_addc_u32 s17, s1, 0
	v_mov_b32_e32 v7, v1
.LBB0_2:                                ; =>This Inner Loop Header: Depth=1
	s_load_dwordx2 s[18:19], s[16:17], 0x0
                                        ; implicit-def: $vgpr9_vgpr10
	s_waitcnt lgkmcnt(0)
	v_or_b32_e32 v6, s19, v8
	v_cmp_ne_u64_e32 vcc, 0, v[5:6]
	s_and_saveexec_b64 s[0:1], vcc
	s_xor_b64 s[20:21], exec, s[0:1]
	s_cbranch_execz .LBB0_4
; %bb.3:                                ;   in Loop: Header=BB0_2 Depth=1
	v_cvt_f32_u32_e32 v2, s18
	v_cvt_f32_u32_e32 v6, s19
	s_sub_u32 s0, 0, s18
	s_subb_u32 s1, 0, s19
	v_mac_f32_e32 v2, 0x4f800000, v6
	v_rcp_f32_e32 v2, v2
	v_mul_f32_e32 v2, 0x5f7ffffc, v2
	v_mul_f32_e32 v6, 0x2f800000, v2
	v_trunc_f32_e32 v6, v6
	v_mac_f32_e32 v2, 0xcf800000, v6
	v_cvt_u32_f32_e32 v6, v6
	v_cvt_u32_f32_e32 v2, v2
	v_mul_lo_u32 v9, s0, v6
	v_mul_hi_u32 v10, s0, v2
	v_mul_lo_u32 v12, s1, v2
	v_mul_lo_u32 v11, s0, v2
	v_add_u32_e32 v9, v10, v9
	v_add_u32_e32 v9, v9, v12
	v_mul_hi_u32 v10, v2, v11
	v_mul_lo_u32 v12, v2, v9
	v_mul_hi_u32 v14, v2, v9
	v_mul_hi_u32 v13, v6, v11
	v_mul_lo_u32 v11, v6, v11
	v_mul_hi_u32 v15, v6, v9
	v_add_co_u32_e32 v10, vcc, v10, v12
	v_addc_co_u32_e32 v12, vcc, 0, v14, vcc
	v_mul_lo_u32 v9, v6, v9
	v_add_co_u32_e32 v10, vcc, v10, v11
	v_addc_co_u32_e32 v10, vcc, v12, v13, vcc
	v_addc_co_u32_e32 v11, vcc, 0, v15, vcc
	v_add_co_u32_e32 v9, vcc, v10, v9
	v_addc_co_u32_e32 v10, vcc, 0, v11, vcc
	v_add_co_u32_e32 v2, vcc, v2, v9
	v_addc_co_u32_e32 v6, vcc, v6, v10, vcc
	v_mul_lo_u32 v9, s0, v6
	v_mul_hi_u32 v10, s0, v2
	v_mul_lo_u32 v11, s1, v2
	v_mul_lo_u32 v12, s0, v2
	v_add_u32_e32 v9, v10, v9
	v_add_u32_e32 v9, v9, v11
	v_mul_lo_u32 v13, v2, v9
	v_mul_hi_u32 v14, v2, v12
	v_mul_hi_u32 v15, v2, v9
	;; [unrolled: 1-line block ×3, first 2 shown]
	v_mul_lo_u32 v12, v6, v12
	v_mul_hi_u32 v10, v6, v9
	v_add_co_u32_e32 v13, vcc, v14, v13
	v_addc_co_u32_e32 v14, vcc, 0, v15, vcc
	v_mul_lo_u32 v9, v6, v9
	v_add_co_u32_e32 v12, vcc, v13, v12
	v_addc_co_u32_e32 v11, vcc, v14, v11, vcc
	v_addc_co_u32_e32 v10, vcc, 0, v10, vcc
	v_add_co_u32_e32 v9, vcc, v11, v9
	v_addc_co_u32_e32 v10, vcc, 0, v10, vcc
	v_add_co_u32_e32 v2, vcc, v2, v9
	v_addc_co_u32_e32 v6, vcc, v6, v10, vcc
	v_mad_u64_u32 v[9:10], s[0:1], v7, v6, 0
	v_mul_hi_u32 v11, v7, v2
	v_add_co_u32_e32 v13, vcc, v11, v9
	v_addc_co_u32_e32 v14, vcc, 0, v10, vcc
	v_mad_u64_u32 v[9:10], s[0:1], v8, v2, 0
	v_mad_u64_u32 v[11:12], s[0:1], v8, v6, 0
	v_add_co_u32_e32 v2, vcc, v13, v9
	v_addc_co_u32_e32 v2, vcc, v14, v10, vcc
	v_addc_co_u32_e32 v6, vcc, 0, v12, vcc
	v_add_co_u32_e32 v2, vcc, v2, v11
	v_addc_co_u32_e32 v6, vcc, 0, v6, vcc
	v_mul_lo_u32 v11, s19, v2
	v_mul_lo_u32 v12, s18, v6
	v_mad_u64_u32 v[9:10], s[0:1], s18, v2, 0
	v_add3_u32 v10, v10, v12, v11
	v_sub_u32_e32 v11, v8, v10
	v_mov_b32_e32 v12, s19
	v_sub_co_u32_e32 v9, vcc, v7, v9
	v_subb_co_u32_e64 v11, s[0:1], v11, v12, vcc
	v_subrev_co_u32_e64 v12, s[0:1], s18, v9
	v_subbrev_co_u32_e64 v11, s[0:1], 0, v11, s[0:1]
	v_cmp_le_u32_e64 s[0:1], s19, v11
	v_cndmask_b32_e64 v13, 0, -1, s[0:1]
	v_cmp_le_u32_e64 s[0:1], s18, v12
	v_cndmask_b32_e64 v12, 0, -1, s[0:1]
	v_cmp_eq_u32_e64 s[0:1], s19, v11
	v_cndmask_b32_e64 v11, v13, v12, s[0:1]
	v_add_co_u32_e64 v12, s[0:1], 2, v2
	v_addc_co_u32_e64 v13, s[0:1], 0, v6, s[0:1]
	v_add_co_u32_e64 v14, s[0:1], 1, v2
	v_addc_co_u32_e64 v15, s[0:1], 0, v6, s[0:1]
	v_subb_co_u32_e32 v10, vcc, v8, v10, vcc
	v_cmp_ne_u32_e64 s[0:1], 0, v11
	v_cmp_le_u32_e32 vcc, s19, v10
	v_cndmask_b32_e64 v11, v15, v13, s[0:1]
	v_cndmask_b32_e64 v13, 0, -1, vcc
	v_cmp_le_u32_e32 vcc, s18, v9
	v_cndmask_b32_e64 v9, 0, -1, vcc
	v_cmp_eq_u32_e32 vcc, s19, v10
	v_cndmask_b32_e32 v9, v13, v9, vcc
	v_cmp_ne_u32_e32 vcc, 0, v9
	v_cndmask_b32_e32 v10, v6, v11, vcc
	v_cndmask_b32_e64 v6, v14, v12, s[0:1]
	v_cndmask_b32_e32 v9, v2, v6, vcc
.LBB0_4:                                ;   in Loop: Header=BB0_2 Depth=1
	s_andn2_saveexec_b64 s[0:1], s[20:21]
	s_cbranch_execz .LBB0_6
; %bb.5:                                ;   in Loop: Header=BB0_2 Depth=1
	v_cvt_f32_u32_e32 v2, s18
	s_sub_i32 s20, 0, s18
	v_rcp_iflag_f32_e32 v2, v2
	v_mul_f32_e32 v2, 0x4f7ffffe, v2
	v_cvt_u32_f32_e32 v2, v2
	v_mul_lo_u32 v6, s20, v2
	v_mul_hi_u32 v6, v2, v6
	v_add_u32_e32 v2, v2, v6
	v_mul_hi_u32 v2, v7, v2
	v_mul_lo_u32 v6, v2, s18
	v_add_u32_e32 v9, 1, v2
	v_sub_u32_e32 v6, v7, v6
	v_subrev_u32_e32 v10, s18, v6
	v_cmp_le_u32_e32 vcc, s18, v6
	v_cndmask_b32_e32 v6, v6, v10, vcc
	v_cndmask_b32_e32 v2, v2, v9, vcc
	v_add_u32_e32 v9, 1, v2
	v_cmp_le_u32_e32 vcc, s18, v6
	v_cndmask_b32_e32 v9, v2, v9, vcc
	v_mov_b32_e32 v10, v5
.LBB0_6:                                ;   in Loop: Header=BB0_2 Depth=1
	s_or_b64 exec, exec, s[0:1]
	v_mul_lo_u32 v2, v10, s18
	v_mul_lo_u32 v6, v9, s19
	v_mad_u64_u32 v[11:12], s[0:1], v9, s18, 0
	s_load_dwordx2 s[0:1], s[6:7], 0x0
	s_add_u32 s14, s14, 1
	v_add3_u32 v2, v12, v6, v2
	v_sub_co_u32_e32 v6, vcc, v7, v11
	v_subb_co_u32_e32 v2, vcc, v8, v2, vcc
	s_waitcnt lgkmcnt(0)
	v_mul_lo_u32 v2, s0, v2
	v_mul_lo_u32 v7, s1, v6
	v_mad_u64_u32 v[3:4], s[0:1], s0, v6, v[3:4]
	s_addc_u32 s15, s15, 0
	s_add_u32 s6, s6, 8
	v_add3_u32 v4, v7, v4, v2
	v_mov_b32_e32 v6, s10
	v_mov_b32_e32 v7, s11
	s_addc_u32 s7, s7, 0
	v_cmp_ge_u64_e32 vcc, s[14:15], v[6:7]
	s_add_u32 s16, s16, 8
	s_addc_u32 s17, s17, 0
	s_cbranch_vccnz .LBB0_8
; %bb.7:                                ;   in Loop: Header=BB0_2 Depth=1
	v_mov_b32_e32 v7, v9
	v_mov_b32_e32 v8, v10
	s_branch .LBB0_2
.LBB0_8:
	s_lshl_b64 s[0:1], s[10:11], 3
	s_add_u32 s0, s2, s0
	s_addc_u32 s1, s3, s1
	s_load_dwordx2 s[2:3], s[0:1], 0x0
	s_load_dwordx2 s[6:7], s[4:5], 0x20
	s_mov_b32 s0, 0x24924925
	v_mul_hi_u32 v5, v1, s0
	s_waitcnt lgkmcnt(0)
	v_mad_u64_u32 v[2:3], s[0:1], s2, v9, v[3:4]
	v_sub_u32_e32 v4, v1, v5
	v_lshrrev_b32_e32 v4, 1, v4
	v_add_u32_e32 v4, v4, v5
	v_lshrrev_b32_e32 v4, 2, v4
	v_mul_lo_u32 v4, v4, 7
	s_mov_b32 s0, 0x7c1f07d
	v_mul_lo_u32 v6, s2, v10
	v_mul_lo_u32 v7, s3, v9
	v_mul_hi_u32 v5, v0, s0
	v_sub_u32_e32 v1, v1, v4
	v_mul_u32_u24_e32 v17, 0xe7, v1
	v_add3_u32 v3, v7, v3, v6
	v_mul_u32_u24_e32 v1, 33, v5
	v_cmp_gt_u64_e32 vcc, s[6:7], v[9:10]
	v_sub_u32_e32 v0, v0, v1
	v_lshlrev_b64 v[2:3], 2, v[2:3]
	v_lshlrev_b32_e32 v22, 2, v17
	v_lshlrev_b32_e32 v4, 2, v0
	s_and_saveexec_b64 s[2:3], vcc
	s_cbranch_execz .LBB0_10
; %bb.9:
	v_mov_b32_e32 v1, 0
	v_mov_b32_e32 v5, s13
	v_add_co_u32_e64 v7, s[0:1], s12, v2
	v_addc_co_u32_e64 v8, s[0:1], v5, v3, s[0:1]
	v_lshlrev_b64 v[5:6], 2, v[0:1]
	v_add_co_u32_e64 v5, s[0:1], v7, v5
	v_addc_co_u32_e64 v6, s[0:1], v8, v6, s[0:1]
	global_load_dword v1, v[5:6], off
	global_load_dword v7, v[5:6], off offset:132
	global_load_dword v8, v[5:6], off offset:264
	;; [unrolled: 1-line block ×6, first 2 shown]
	v_add3_u32 v5, 0, v22, v4
	s_waitcnt vmcnt(5)
	ds_write2_b32 v5, v1, v7 offset1:33
	s_waitcnt vmcnt(3)
	ds_write2_b32 v5, v8, v9 offset0:66 offset1:99
	s_waitcnt vmcnt(1)
	ds_write2_b32 v5, v10, v11 offset0:132 offset1:165
	s_waitcnt vmcnt(0)
	ds_write_b32 v5, v12 offset:792
.LBB0_10:
	s_or_b64 exec, exec, s[2:3]
	v_add_u32_e32 v21, 0, v4
	v_add_u32_e32 v1, v21, v22
	s_waitcnt lgkmcnt(0)
	s_barrier
	ds_read2_b32 v[8:9], v1 offset0:21 offset1:42
	ds_read2_b32 v[6:7], v1 offset0:189 offset1:210
	v_add3_u32 v16, 0, v22, v4
	ds_read_b32 v4, v16
	s_mov_b32 s6, 0xbbeb
	s_mov_b32 s4, 0xb08e
	s_waitcnt lgkmcnt(1)
	v_pk_add_f16 v24, v8, v7 neg_lo:[0,1] neg_hi:[0,1]
	v_pk_add_f16 v23, v7, v8
	v_mul_f16_sdwa v33, v24, s6 dst_sel:DWORD dst_unused:UNUSED_PAD src0_sel:WORD_1 src1_sel:DWORD
	v_pk_add_f16 v26, v9, v6 neg_lo:[0,1] neg_hi:[0,1]
	s_movk_i32 s10, 0x3482
	v_fma_f16 v5, v23, s4, -v33
	v_pk_add_f16 v25, v6, v9
	s_mov_b32 s5, 0xbbad
	v_mul_f16_sdwa v35, v26, s10 dst_sel:DWORD dst_unused:UNUSED_PAD src0_sel:WORD_1 src1_sel:DWORD
	v_mul_f16_sdwa v34, v23, s4 dst_sel:DWORD dst_unused:UNUSED_PAD src0_sel:WORD_1 src1_sel:DWORD
	s_waitcnt lgkmcnt(0)
	v_add_f16_e32 v5, v4, v5
	v_fma_f16 v10, v25, s5, -v35
	v_add_f16_e32 v5, v10, v5
	v_fma_f16 v10, v24, s6, v34
	v_mul_f16_sdwa v36, v25, s5 dst_sel:DWORD dst_unused:UNUSED_PAD src0_sel:WORD_1 src1_sel:DWORD
	s_mov_b32 s11, 0xba0c
	v_add_f16_sdwa v10, v4, v10 dst_sel:DWORD dst_unused:UNUSED_PAD src0_sel:WORD_1 src1_sel:DWORD
	v_fma_f16 v11, v26, s10, v36
	s_mov_b32 s7, 0xb93d
	v_mul_f16_sdwa v37, v24, s11 dst_sel:DWORD dst_unused:UNUSED_PAD src0_sel:WORD_1 src1_sel:DWORD
	s_movk_i32 s14, 0x3beb
	v_add_f16_e32 v14, v11, v10
	v_fma_f16 v10, v23, s7, -v37
	v_mul_f16_sdwa v38, v26, s14 dst_sel:DWORD dst_unused:UNUSED_PAD src0_sel:WORD_1 src1_sel:DWORD
	v_add_f16_e32 v10, v4, v10
	v_fma_f16 v11, v25, s4, -v38
	v_mul_f16_sdwa v42, v23, s7 dst_sel:DWORD dst_unused:UNUSED_PAD src0_sel:WORD_1 src1_sel:DWORD
	v_add_f16_e32 v15, v11, v10
	v_fma_f16 v10, v24, s11, v42
	v_add_f16_sdwa v18, v4, v10 dst_sel:DWORD dst_unused:UNUSED_PAD src0_sel:WORD_1 src1_sel:DWORD
	ds_read2_b32 v[12:13], v1 offset0:63 offset1:84
	ds_read2_b32 v[10:11], v1 offset0:147 offset1:168
	v_mul_f16_sdwa v43, v25, s4 dst_sel:DWORD dst_unused:UNUSED_PAD src0_sel:WORD_1 src1_sel:DWORD
	s_movk_i32 s17, 0x3b47
	v_fma_f16 v19, v26, s14, v43
	s_movk_i32 s15, 0x36a6
	s_waitcnt lgkmcnt(0)
	v_pk_add_f16 v28, v12, v11 neg_lo:[0,1] neg_hi:[0,1]
	v_pk_add_f16 v27, v11, v12
	v_mul_f16_sdwa v39, v28, s17 dst_sel:DWORD dst_unused:UNUSED_PAD src0_sel:WORD_1 src1_sel:DWORD
	v_add_f16_e32 v18, v19, v18
	v_fma_f16 v19, v27, s15, -v39
	v_mul_f16_sdwa v40, v27, s15 dst_sel:DWORD dst_unused:UNUSED_PAD src0_sel:WORD_1 src1_sel:DWORD
	s_mov_b32 s19, 0xb853
	v_add_f16_e32 v5, v19, v5
	v_fma_f16 v19, v28, s17, v40
	s_movk_i32 s16, 0x3abb
	v_mul_f16_sdwa v44, v28, s19 dst_sel:DWORD dst_unused:UNUSED_PAD src0_sel:WORD_1 src1_sel:DWORD
	v_add_f16_e32 v14, v19, v14
	v_fma_f16 v19, v27, s16, -v44
	v_mul_f16_sdwa v48, v27, s16 dst_sel:DWORD dst_unused:UNUSED_PAD src0_sel:WORD_1 src1_sel:DWORD
	v_pk_add_f16 v30, v13, v10 neg_lo:[0,1] neg_hi:[0,1]
	v_add_f16_e32 v19, v19, v15
	v_fma_f16 v15, v28, s19, v48
	v_pk_add_f16 v29, v10, v13
	v_mul_f16_sdwa v41, v30, s19 dst_sel:DWORD dst_unused:UNUSED_PAD src0_sel:WORD_1 src1_sel:DWORD
	v_add_f16_e32 v18, v15, v18
	v_fma_f16 v15, v29, s16, -v41
	v_mul_f16_sdwa v45, v29, s16 dst_sel:DWORD dst_unused:UNUSED_PAD src0_sel:WORD_1 src1_sel:DWORD
	v_add_f16_e32 v5, v15, v5
	v_fma_f16 v15, v30, s19, v45
	v_add_f16_e32 v20, v15, v14
	ds_read2_b32 v[14:15], v1 offset0:105 offset1:126
	s_mov_b32 s18, 0xb482
	v_mul_f16_sdwa v47, v30, s18 dst_sel:DWORD dst_unused:UNUSED_PAD src0_sel:WORD_1 src1_sel:DWORD
	v_fma_f16 v31, v29, s5, -v47
	v_mul_f16_sdwa v50, v29, s5 dst_sel:DWORD dst_unused:UNUSED_PAD src0_sel:WORD_1 src1_sel:DWORD
	s_waitcnt lgkmcnt(0)
	v_pk_add_f16 v32, v14, v15 neg_lo:[0,1] neg_hi:[0,1]
	v_add_f16_e32 v53, v31, v19
	v_fma_f16 v19, v30, s18, v50
	v_pk_add_f16 v31, v15, v14
	v_mul_f16_sdwa v46, v32, s11 dst_sel:DWORD dst_unused:UNUSED_PAD src0_sel:WORD_1 src1_sel:DWORD
	v_add_f16_e32 v51, v19, v18
	v_fma_f16 v18, v31, s7, -v46
	v_mul_f16_sdwa v49, v31, s7 dst_sel:DWORD dst_unused:UNUSED_PAD src0_sel:WORD_1 src1_sel:DWORD
	v_add_f16_e32 v18, v18, v5
	v_fma_f16 v5, v32, s11, v49
	v_mul_f16_sdwa v52, v31, s15 dst_sel:DWORD dst_unused:UNUSED_PAD src0_sel:WORD_1 src1_sel:DWORD
	v_add_f16_e32 v19, v5, v20
	v_fma_f16 v5, v32, s17, v52
	v_add_f16_e32 v20, v5, v51
	v_mul_f16_sdwa v51, v32, s17 dst_sel:DWORD dst_unused:UNUSED_PAD src0_sel:WORD_1 src1_sel:DWORD
	v_fma_f16 v5, v31, s15, -v51
	v_add_f16_e32 v5, v5, v53
	v_cmp_gt_u32_e64 s[0:1], 21, v0
	s_barrier
	s_and_saveexec_b64 s[2:3], s[0:1]
	s_cbranch_execz .LBB0_12
; %bb.11:
	v_mul_f16_e32 v56, 0xba0c, v24
	v_mul_f16_e32 v60, 0x3beb, v26
	v_sub_f16_e32 v42, v42, v56
	v_pk_add_f16 v8, v4, v8
	v_sub_f16_e32 v43, v43, v60
	v_mul_f16_e32 v60, 0xb853, v28
	v_add_f16_sdwa v42, v4, v42 dst_sel:DWORD dst_unused:UNUSED_PAD src0_sel:WORD_1 src1_sel:DWORD
	v_pk_add_f16 v8, v8, v9
	v_mul_f16_e32 v53, 0xb08e, v23
	v_add_f16_e32 v42, v43, v42
	v_sub_f16_e32 v48, v48, v60
	v_pk_add_f16 v8, v8, v12
	v_mul_f16_e32 v54, 0xbbeb, v24
	v_mul_f16_e32 v57, 0xbbad, v25
	v_add_f16_e32 v42, v48, v42
	v_mul_f16_e32 v48, 0xb482, v30
	v_add_f16_e32 v33, v53, v33
	v_pk_add_f16 v8, v8, v13
	v_mul_f16_e32 v58, 0x3482, v26
	v_mul_f16_e32 v61, 0x36a6, v27
	v_sub_f16_e32 v48, v50, v48
	v_sub_f16_e32 v34, v34, v54
	v_add_f16_e32 v33, v4, v33
	v_add_f16_e32 v35, v57, v35
	v_pk_add_f16 v8, v8, v14
	v_mul_f16_e32 v55, 0xb93d, v23
	v_mul_f16_e32 v62, 0x3b47, v28
	;; [unrolled: 1-line block ×3, first 2 shown]
	v_add_f16_e32 v42, v48, v42
	v_mul_f16_e32 v48, 0x3b47, v32
	v_add_f16_sdwa v34, v4, v34 dst_sel:DWORD dst_unused:UNUSED_PAD src0_sel:WORD_1 src1_sel:DWORD
	v_sub_f16_e32 v36, v36, v58
	v_add_f16_e32 v33, v35, v33
	v_add_f16_e32 v35, v61, v39
	v_pk_add_f16 v8, v8, v15
	v_mul_f16_e32 v59, 0xb08e, v25
	v_mul_f16_e32 v60, 0xb853, v30
	v_sub_f16_e32 v48, v52, v48
	v_mul_f16_e32 v52, 0xb93d, v31
	v_add_f16_e32 v37, v55, v37
	v_add_f16_e32 v34, v36, v34
	v_sub_f16_e32 v36, v40, v62
	v_add_f16_e32 v33, v35, v33
	v_add_f16_e32 v35, v43, v41
	v_pk_add_f16 v8, v8, v10
	v_mul_f16_e32 v56, 0x3abb, v27
	v_add_f16_e32 v42, v48, v42
	v_mul_f16_e32 v48, 0xba0c, v32
	v_add_f16_e32 v37, v4, v37
	v_add_f16_e32 v38, v59, v38
	;; [unrolled: 1-line block ×3, first 2 shown]
	v_sub_f16_e32 v36, v45, v60
	v_add_f16_e32 v33, v35, v33
	v_add_f16_e32 v35, v52, v46
	v_pk_add_f16 v8, v8, v11
	v_mul_f16_e32 v50, 0xbbad, v29
	v_add_f16_e32 v37, v38, v37
	v_add_f16_e32 v38, v56, v44
	;; [unrolled: 1-line block ×3, first 2 shown]
	v_sub_f16_e32 v36, v49, v48
	v_add_f16_e32 v33, v35, v33
	v_pk_mul_f16 v35, v24, s19 op_sel_hi:[1,0]
	s_mov_b32 s0, 0xbb47
	v_pk_add_f16 v6, v8, v6
	v_mul_f16_e32 v55, 0x36a6, v31
	v_add_f16_e32 v37, v38, v37
	v_add_f16_e32 v38, v50, v47
	;; [unrolled: 1-line block ×3, first 2 shown]
	v_pk_mul_f16 v36, v26, s0 op_sel_hi:[1,0]
	v_pk_add_f16 v6, v6, v7
	v_pk_fma_f16 v7, v23, s16, v35 op_sel:[0,0,1] op_sel_hi:[1,0,0]
	v_pk_fma_f16 v8, v23, s16, v35 op_sel:[0,0,1] op_sel_hi:[1,0,0] neg_lo:[0,0,1] neg_hi:[0,0,1]
	s_mov_b32 s1, 0xffff
	v_add_f16_e32 v37, v38, v37
	v_add_f16_e32 v38, v55, v51
	v_bfi_b32 v9, s1, v7, v8
	v_pk_fma_f16 v10, v25, s15, v36 op_sel:[0,0,1] op_sel_hi:[1,0,0]
	v_pk_fma_f16 v11, v25, s15, v36 op_sel:[0,0,1] op_sel_hi:[1,0,0] neg_lo:[0,0,1] neg_hi:[0,0,1]
	v_add_f16_e32 v37, v38, v37
	v_pk_mul_f16 v38, v28, s6 op_sel_hi:[1,0]
	v_pk_add_f16 v9, v4, v9
	v_bfi_b32 v12, s1, v10, v11
	v_pk_add_f16 v9, v12, v9
	v_pk_fma_f16 v12, v27, s4, v38 op_sel:[0,0,1] op_sel_hi:[1,0,0]
	v_pk_fma_f16 v13, v27, s4, v38 op_sel:[0,0,1] op_sel_hi:[1,0,0] neg_lo:[0,0,1] neg_hi:[0,0,1]
	v_pk_mul_f16 v39, v30, s11 op_sel_hi:[1,0]
	v_bfi_b32 v14, s1, v12, v13
	v_pk_add_f16 v9, v14, v9
	v_pk_fma_f16 v14, v29, s7, v39 op_sel:[0,0,1] op_sel_hi:[1,0,0]
	v_pk_fma_f16 v15, v29, s7, v39 op_sel:[0,0,1] op_sel_hi:[1,0,0] neg_lo:[0,0,1] neg_hi:[0,0,1]
	v_pk_mul_f16 v40, v32, s18 op_sel_hi:[1,0]
	v_bfi_b32 v35, s1, v14, v15
	v_pk_add_f16 v9, v35, v9
	v_pk_fma_f16 v35, v31, s5, v40 op_sel:[0,0,1] op_sel_hi:[1,0,0]
	v_pk_fma_f16 v36, v31, s5, v40 op_sel:[0,0,1] op_sel_hi:[1,0,0] neg_lo:[0,0,1] neg_hi:[0,0,1]
	v_mul_u32_u24_e32 v41, 40, v0
	v_bfi_b32 v38, s1, v35, v36
	v_add3_u32 v41, v21, v41, v22
	v_pk_add_f16 v9, v38, v9
	ds_write2_b32 v41, v6, v9 offset1:1
	v_pack_b32_f16 v6, v37, v42
	ds_write_b32 v41, v6 offset:16
	v_pk_mul_f16 v6, v23, s5 op_sel_hi:[1,0]
	v_pk_fma_f16 v9, v24, s18, v6 op_sel:[0,0,1] op_sel_hi:[1,0,0]
	v_pk_mul_f16 v38, v25, s16 op_sel_hi:[1,0]
	s_movk_i32 s19, 0x3853
	v_alignbit_b32 v37, s0, v9, 16
	v_pk_fma_f16 v39, v26, s19, v38 op_sel:[0,0,1] op_sel_hi:[1,0,0]
	v_pk_add_f16 v37, v4, v37
	v_alignbit_b32 v40, s0, v39, 16
	v_pk_add_f16 v37, v40, v37
	v_pk_mul_f16 v40, v27, s7 op_sel_hi:[1,0]
	v_pk_fma_f16 v42, v28, s11, v40 op_sel:[0,0,1] op_sel_hi:[1,0,0]
	v_alignbit_b32 v43, s0, v42, 16
	v_pk_add_f16 v37, v43, v37
	v_pk_mul_f16 v43, v29, s15 op_sel_hi:[1,0]
	v_pk_fma_f16 v44, v30, s17, v43 op_sel:[0,0,1] op_sel_hi:[1,0,0]
	;; [unrolled: 4-line block ×3, first 2 shown]
	v_alignbit_b32 v47, s0, v46, 16
	v_pk_add_f16 v37, v47, v37
	v_alignbit_b32 v47, s0, v4, 16
	v_pk_fma_f16 v6, v24, s18, v6 op_sel:[0,0,1] op_sel_hi:[1,0,0] neg_lo:[1,0,0] neg_hi:[1,0,0]
	v_pk_add_f16 v9, v47, v9
	v_pk_add_f16 v6, v4, v6 op_sel:[1,0] op_sel_hi:[0,1]
	v_pk_fma_f16 v38, v26, s19, v38 op_sel:[0,0,1] op_sel_hi:[1,0,0] neg_lo:[1,0,0] neg_hi:[1,0,0]
	v_pk_add_f16 v9, v39, v9
	v_pk_add_f16 v6, v38, v6
	v_pk_fma_f16 v38, v28, s11, v40 op_sel:[0,0,1] op_sel_hi:[1,0,0] neg_lo:[1,0,0] neg_hi:[1,0,0]
	v_pk_add_f16 v9, v42, v9
	v_pk_add_f16 v6, v38, v6
	;; [unrolled: 3-line block ×4, first 2 shown]
	v_alignbit_b32 v9, v9, v6, 16
	v_pack_b32_f16 v6, v37, v6
	s_mov_b32 s6, 0x5040100
	ds_write2_b32 v41, v6, v9 offset0:5 offset1:6
	v_perm_b32 v6, v19, v18, s6
	v_perm_b32 v9, v20, v5, s6
	ds_write2_b32 v41, v9, v6 offset0:7 offset1:8
	v_pk_mul_f16 v6, v24, s0 op_sel_hi:[1,0]
	v_pk_fma_f16 v9, v23, s15, v6 op_sel:[0,0,1] op_sel_hi:[1,0,0] neg_lo:[0,0,1] neg_hi:[0,0,1]
	v_pk_mul_f16 v24, v26, s11 op_sel_hi:[1,0]
	v_pk_mul_f16 v28, v28, s10 op_sel_hi:[1,0]
	v_lshrrev_b32_e32 v40, 16, v9
	v_pk_fma_f16 v6, v23, s15, v6 op_sel:[0,0,1] op_sel_hi:[1,0,0]
	v_pk_fma_f16 v26, v25, s7, v24 op_sel:[0,0,1] op_sel_hi:[1,0,0] neg_lo:[0,0,1] neg_hi:[0,0,1]
	v_pk_fma_f16 v37, v27, s5, v28 op_sel:[0,0,1] op_sel_hi:[1,0,0] neg_lo:[0,0,1] neg_hi:[0,0,1]
	v_add_f16_sdwa v40, v4, v40 dst_sel:DWORD dst_unused:UNUSED_PAD src0_sel:WORD_1 src1_sel:DWORD
	v_pk_fma_f16 v23, v25, s7, v24 op_sel:[0,0,1] op_sel_hi:[1,0,0]
	v_pk_fma_f16 v24, v27, s5, v28 op_sel:[0,0,1] op_sel_hi:[1,0,0]
	v_add_f16_e32 v28, v4, v6
	v_bfi_b32 v6, s1, v9, v6
	v_bfi_b32 v7, s1, v8, v7
	v_pk_mul_f16 v30, v30, s14 op_sel_hi:[1,0]
	v_add_f16_sdwa v40, v26, v40 dst_sel:DWORD dst_unused:UNUSED_PAD src0_sel:WORD_1 src1_sel:DWORD
	v_add_f16_e32 v28, v23, v28
	v_pk_add_f16 v6, v4, v6
	v_bfi_b32 v9, s1, v26, v23
	v_pk_add_f16 v4, v4, v7
	v_bfi_b32 v7, s1, v11, v10
	v_pk_fma_f16 v38, v29, s4, v30 op_sel:[0,0,1] op_sel_hi:[1,0,0] neg_lo:[0,0,1] neg_hi:[0,0,1]
	v_pk_mul_f16 v32, v32, s19 op_sel_hi:[1,0]
	v_add_f16_sdwa v40, v37, v40 dst_sel:DWORD dst_unused:UNUSED_PAD src0_sel:WORD_1 src1_sel:DWORD
	v_pk_fma_f16 v25, v29, s4, v30 op_sel:[0,0,1] op_sel_hi:[1,0,0]
	v_add_f16_e32 v28, v24, v28
	v_pk_add_f16 v6, v9, v6
	v_bfi_b32 v9, s1, v37, v24
	v_pk_add_f16 v4, v7, v4
	v_bfi_b32 v7, s1, v13, v12
	v_pk_fma_f16 v39, v31, s16, v32 op_sel:[0,0,1] op_sel_hi:[1,0,0] neg_lo:[0,0,1] neg_hi:[0,0,1]
	v_add_f16_sdwa v40, v38, v40 dst_sel:DWORD dst_unused:UNUSED_PAD src0_sel:WORD_1 src1_sel:DWORD
	v_pk_fma_f16 v27, v31, s16, v32 op_sel:[0,0,1] op_sel_hi:[1,0,0]
	v_add_f16_e32 v28, v25, v28
	v_pk_add_f16 v6, v9, v6
	v_bfi_b32 v9, s1, v38, v25
	v_pk_add_f16 v4, v7, v4
	v_bfi_b32 v7, s1, v15, v14
	v_add_f16_sdwa v40, v39, v40 dst_sel:DWORD dst_unused:UNUSED_PAD src0_sel:WORD_1 src1_sel:DWORD
	v_add_f16_e32 v28, v27, v28
	v_pk_add_f16 v6, v9, v6
	v_bfi_b32 v9, s1, v39, v27
	v_pk_add_f16 v4, v7, v4
	v_bfi_b32 v7, s1, v36, v35
	v_pk_add_f16 v6, v9, v6
	v_pack_b32_f16 v9, v33, v34
	v_pack_b32_f16 v23, v28, v40
	v_pk_add_f16 v4, v7, v4
	ds_write2_b32 v41, v23, v9 offset0:2 offset1:3
	ds_write2_b32 v41, v6, v4 offset0:9 offset1:10
.LBB0_12:
	s_or_b64 exec, exec, s[2:3]
	s_movk_i32 s0, 0x75
	v_mul_lo_u16_sdwa v4, v0, s0 dst_sel:DWORD dst_unused:UNUSED_PAD src0_sel:BYTE_0 src1_sel:DWORD
	v_sub_u16_sdwa v6, v0, v4 dst_sel:DWORD dst_unused:UNUSED_PAD src0_sel:DWORD src1_sel:BYTE_1
	v_lshrrev_b16_e32 v6, 1, v6
	v_and_b32_e32 v6, 0x7f, v6
	v_add_u16_sdwa v4, v6, v4 dst_sel:DWORD dst_unused:UNUSED_PAD src0_sel:DWORD src1_sel:BYTE_1
	v_lshrrev_b16_e32 v25, 3, v4
	v_mul_lo_u16_e32 v4, 11, v25
	v_sub_u16_e32 v26, v0, v4
	v_mov_b32_e32 v4, 6
	v_mul_u32_u24_sdwa v4, v26, v4 dst_sel:DWORD dst_unused:UNUSED_PAD src0_sel:BYTE_0 src1_sel:DWORD
	v_lshlrev_b32_e32 v4, 2, v4
	s_waitcnt lgkmcnt(0)
	s_barrier
	global_load_dwordx4 v[6:9], v4, s[8:9]
	global_load_dwordx2 v[10:11], v4, s[8:9] offset:16
	ds_read_b32 v4, v16
	ds_read2_b32 v[12:13], v1 offset0:33 offset1:66
	ds_read2_b32 v[14:15], v1 offset0:99 offset1:132
	;; [unrolled: 1-line block ×3, first 2 shown]
	s_movk_i32 s0, 0x2b26
	s_mov_b32 s2, 0xbcab
	s_waitcnt lgkmcnt(2)
	v_lshrrev_b32_e32 v27, 16, v12
	v_lshrrev_b32_e32 v28, 16, v13
	s_waitcnt lgkmcnt(0)
	v_lshrrev_b32_e32 v31, 16, v23
	v_lshrrev_b32_e32 v32, 16, v24
	;; [unrolled: 1-line block ×4, first 2 shown]
	s_mov_b32 s1, 0xbb00
	s_waitcnt vmcnt(0)
	s_barrier
	v_mul_f16_sdwa v33, v6, v27 dst_sel:DWORD dst_unused:UNUSED_PAD src0_sel:WORD_1 src1_sel:DWORD
	v_mul_f16_sdwa v34, v6, v12 dst_sel:DWORD dst_unused:UNUSED_PAD src0_sel:WORD_1 src1_sel:DWORD
	v_mul_f16_sdwa v35, v7, v28 dst_sel:DWORD dst_unused:UNUSED_PAD src0_sel:WORD_1 src1_sel:DWORD
	v_mul_f16_sdwa v36, v7, v13 dst_sel:DWORD dst_unused:UNUSED_PAD src0_sel:WORD_1 src1_sel:DWORD
	v_mul_f16_sdwa v41, v10, v31 dst_sel:DWORD dst_unused:UNUSED_PAD src0_sel:WORD_1 src1_sel:DWORD
	v_mul_f16_sdwa v42, v10, v23 dst_sel:DWORD dst_unused:UNUSED_PAD src0_sel:WORD_1 src1_sel:DWORD
	v_mul_f16_sdwa v43, v11, v32 dst_sel:DWORD dst_unused:UNUSED_PAD src0_sel:WORD_1 src1_sel:DWORD
	v_mul_f16_sdwa v44, v11, v24 dst_sel:DWORD dst_unused:UNUSED_PAD src0_sel:WORD_1 src1_sel:DWORD
	v_mul_f16_sdwa v37, v8, v29 dst_sel:DWORD dst_unused:UNUSED_PAD src0_sel:WORD_1 src1_sel:DWORD
	v_mul_f16_sdwa v38, v8, v14 dst_sel:DWORD dst_unused:UNUSED_PAD src0_sel:WORD_1 src1_sel:DWORD
	v_mul_f16_sdwa v39, v9, v30 dst_sel:DWORD dst_unused:UNUSED_PAD src0_sel:WORD_1 src1_sel:DWORD
	v_mul_f16_sdwa v40, v9, v15 dst_sel:DWORD dst_unused:UNUSED_PAD src0_sel:WORD_1 src1_sel:DWORD
	v_fma_f16 v12, v6, v12, v33
	v_fma_f16 v6, v6, v27, -v34
	v_fma_f16 v13, v7, v13, v35
	v_fma_f16 v7, v7, v28, -v36
	;; [unrolled: 2-line block ×6, first 2 shown]
	v_add_f16_e32 v27, v12, v24
	v_add_f16_e32 v28, v6, v11
	v_sub_f16_e32 v12, v12, v24
	v_sub_f16_e32 v6, v6, v11
	v_add_f16_e32 v11, v13, v23
	v_add_f16_e32 v24, v7, v10
	v_sub_f16_e32 v13, v13, v23
	v_sub_f16_e32 v7, v7, v10
	;; [unrolled: 4-line block ×4, first 2 shown]
	v_sub_f16_e32 v27, v27, v10
	v_sub_f16_e32 v28, v28, v23
	;; [unrolled: 1-line block ×3, first 2 shown]
	v_add_f16_e32 v9, v10, v9
	v_add_f16_e32 v10, v23, v15
	v_sub_f16_e32 v24, v23, v24
	v_mul_f16_e32 v15, 0x3a52, v27
	v_mul_f16_e32 v23, 0x3a52, v28
	v_add_f16_e32 v35, v9, v4
	v_add_f16_sdwa v36, v10, v4 dst_sel:DWORD dst_unused:UNUSED_PAD src0_sel:DWORD src1_sel:WORD_1
	v_mul_f16_e32 v27, 0x2b26, v11
	v_mul_f16_e32 v28, 0x2b26, v24
	v_fma_f16 v4, v9, s2, v35
	v_fma_f16 v9, v10, s2, v36
	v_fma_f16 v10, v11, s0, v15
	v_fma_f16 v11, v24, s0, v23
	s_movk_i32 s0, 0x39e0
	v_add_f16_e32 v31, v14, v13
	v_add_f16_e32 v32, v8, v7
	v_sub_f16_e32 v33, v14, v13
	v_sub_f16_e32 v34, v8, v7
	v_fma_f16 v24, v29, s0, -v27
	v_fma_f16 v27, v30, s0, -v28
	s_mov_b32 s0, 0xb9e0
	v_sub_f16_e32 v14, v12, v14
	v_sub_f16_e32 v8, v6, v8
	;; [unrolled: 1-line block ×4, first 2 shown]
	v_add_f16_e32 v12, v31, v12
	v_add_f16_e32 v6, v32, v6
	v_mul_f16_e32 v31, 0x3846, v33
	v_mul_f16_e32 v32, 0x3846, v34
	v_fma_f16 v15, v29, s0, -v15
	v_fma_f16 v23, v30, s0, -v23
	s_mov_b32 s0, 0xb574
	v_mul_f16_e32 v33, 0xbb00, v13
	v_mul_f16_e32 v34, 0xbb00, v7
	v_fma_f16 v28, v14, s0, v31
	v_fma_f16 v29, v8, s0, v32
	s_movk_i32 s0, 0x3574
	v_fma_f16 v13, v13, s1, -v31
	v_fma_f16 v14, v14, s0, -v33
	;; [unrolled: 1-line block ×3, first 2 shown]
	s_mov_b32 s0, 0xb70e
	v_fma_f16 v7, v7, s1, -v32
	v_add_f16_e32 v10, v10, v4
	v_add_f16_e32 v11, v11, v9
	;; [unrolled: 1-line block ×6, first 2 shown]
	v_fma_f16 v15, v12, s0, v28
	v_fma_f16 v13, v12, s0, v13
	v_fma_f16 v12, v12, s0, v14
	v_fma_f16 v23, v6, s0, v29
	v_fma_f16 v7, v6, s0, v7
	v_fma_f16 v6, v6, s0, v8
	v_sub_f16_e32 v14, v11, v15
	v_sub_f16_e32 v29, v9, v12
	v_add_f16_e32 v9, v12, v9
	v_add_f16_e32 v12, v15, v11
	s_movk_i32 s0, 0x134
	v_mov_b32_e32 v11, 2
	v_add_f16_e32 v8, v23, v10
	v_add_f16_e32 v28, v6, v4
	v_sub_f16_e32 v30, v24, v7
	v_add_f16_e32 v31, v13, v27
	v_add_f16_e32 v7, v7, v24
	v_sub_f16_e32 v13, v27, v13
	v_sub_f16_e32 v6, v4, v6
	;; [unrolled: 1-line block ×3, first 2 shown]
	v_mad_u32_u24 v10, v25, s0, 0
	v_lshlrev_b32_sdwa v11, v11, v26 dst_sel:DWORD dst_unused:UNUSED_PAD src0_sel:DWORD src1_sel:BYTE_0
	v_add3_u32 v10, v10, v11, v22
	v_pack_b32_f16 v11, v35, v36
	v_pack_b32_f16 v8, v8, v14
	;; [unrolled: 1-line block ×4, first 2 shown]
	ds_write2_b32 v10, v11, v8 offset1:11
	v_pack_b32_f16 v8, v28, v29
	v_pack_b32_f16 v11, v30, v31
	ds_write2_b32 v10, v7, v6 offset0:44 offset1:55
	v_pack_b32_f16 v6, v4, v12
	ds_write2_b32 v10, v8, v11 offset0:22 offset1:33
	ds_write_b32 v10, v6 offset:264
	s_waitcnt lgkmcnt(0)
	s_barrier
	ds_read2_b32 v[6:7], v1 offset0:33 offset1:77
	ds_read2_b32 v[10:11], v1 offset0:110 offset1:154
	ds_read_b32 v13, v16
	ds_read_b32 v14, v1 offset:748
	v_cmp_gt_u32_e64 s[0:1], 11, v0
	s_and_saveexec_b64 s[2:3], s[0:1]
	s_cbranch_execz .LBB0_14
; %bb.13:
	ds_read2_b32 v[4:5], v1 offset0:66 offset1:143
	ds_read_b32 v18, v1 offset:880
	s_waitcnt lgkmcnt(1)
	v_lshrrev_b32_e32 v12, 16, v4
	v_lshrrev_b32_e32 v20, 16, v5
	s_waitcnt lgkmcnt(0)
	v_lshrrev_b32_e32 v19, 16, v18
.LBB0_14:
	s_or_b64 exec, exec, s[2:3]
	v_lshlrev_b32_e32 v8, 1, v0
	v_mov_b32_e32 v9, 0
	v_lshlrev_b64 v[22:23], 2, v[8:9]
	v_add_u32_e32 v8, 0x42, v8
	v_mov_b32_e32 v15, s9
	v_add_co_u32_e64 v22, s[2:3], s8, v22
	v_lshlrev_b64 v[24:25], 2, v[8:9]
	v_addc_co_u32_e64 v23, s[2:3], v15, v23, s[2:3]
	v_add_co_u32_e64 v24, s[2:3], s8, v24
	global_load_dwordx2 v[22:23], v[22:23], off offset:264
	v_addc_co_u32_e64 v25, s[2:3], v15, v25, s[2:3]
	global_load_dwordx2 v[24:25], v[24:25], off offset:264
	s_waitcnt lgkmcnt(2)
	v_lshrrev_b32_e32 v27, 16, v11
	v_lshrrev_b32_e32 v28, 16, v7
	v_lshl_add_u32 v8, v17, 2, v21
	s_waitcnt lgkmcnt(0)
	v_lshrrev_b32_e32 v21, 16, v14
	v_lshrrev_b32_e32 v26, 16, v10
	;; [unrolled: 1-line block ×4, first 2 shown]
	s_mov_b32 s4, 0xbaee
	s_movk_i32 s5, 0x3aee
	s_waitcnt vmcnt(0)
	s_barrier
	v_mul_f16_sdwa v29, v22, v28 dst_sel:DWORD dst_unused:UNUSED_PAD src0_sel:WORD_1 src1_sel:DWORD
	v_mul_f16_sdwa v30, v22, v7 dst_sel:DWORD dst_unused:UNUSED_PAD src0_sel:WORD_1 src1_sel:DWORD
	;; [unrolled: 1-line block ×4, first 2 shown]
	v_fma_f16 v7, v22, v7, v29
	v_fma_f16 v22, v22, v28, -v30
	v_fma_f16 v11, v23, v11, v31
	v_fma_f16 v23, v23, v27, -v32
	v_mul_f16_sdwa v27, v24, v26 dst_sel:DWORD dst_unused:UNUSED_PAD src0_sel:WORD_1 src1_sel:DWORD
	v_mul_f16_sdwa v28, v24, v10 dst_sel:DWORD dst_unused:UNUSED_PAD src0_sel:WORD_1 src1_sel:DWORD
	v_mul_f16_sdwa v29, v25, v21 dst_sel:DWORD dst_unused:UNUSED_PAD src0_sel:WORD_1 src1_sel:DWORD
	v_mul_f16_sdwa v30, v25, v14 dst_sel:DWORD dst_unused:UNUSED_PAD src0_sel:WORD_1 src1_sel:DWORD
	v_fma_f16 v10, v24, v10, v27
	v_fma_f16 v24, v24, v26, -v28
	v_fma_f16 v14, v25, v14, v29
	v_fma_f16 v21, v25, v21, -v30
	v_add_f16_e32 v25, v7, v13
	v_add_f16_e32 v26, v7, v11
	v_sub_f16_e32 v27, v22, v23
	v_add_f16_e32 v28, v22, v17
	v_add_f16_e32 v22, v22, v23
	v_sub_f16_e32 v7, v7, v11
	v_add_f16_e32 v11, v25, v11
	v_fma_f16 v13, v26, -0.5, v13
	v_add_f16_e32 v23, v28, v23
	v_fma_f16 v17, v22, -0.5, v17
	v_add_f16_e32 v25, v10, v14
	v_sub_f16_e32 v26, v24, v21
	v_add_f16_e32 v28, v15, v24
	v_add_f16_e32 v24, v24, v21
	;; [unrolled: 1-line block ×3, first 2 shown]
	v_sub_f16_e32 v10, v10, v14
	v_fma_f16 v29, v27, s4, v13
	v_fma_f16 v13, v27, s5, v13
	;; [unrolled: 1-line block ×4, first 2 shown]
	v_fma_f16 v6, v25, -0.5, v6
	v_fma_f16 v15, v24, -0.5, v15
	v_add_f16_e32 v14, v22, v14
	v_add_f16_e32 v17, v28, v21
	v_fma_f16 v21, v26, s4, v6
	v_fma_f16 v6, v26, s5, v6
	;; [unrolled: 1-line block ×4, first 2 shown]
	v_pack_b32_f16 v15, v29, v27
	v_pack_b32_f16 v7, v13, v7
	;; [unrolled: 1-line block ×4, first 2 shown]
	ds_write2_b32 v1, v15, v7 offset0:77 offset1:154
	ds_write2_b32 v1, v11, v13 offset1:33
	v_pack_b32_f16 v7, v21, v22
	v_pack_b32_f16 v6, v6, v10
	ds_write2_b32 v8, v7, v6 offset0:110 offset1:187
	s_and_saveexec_b64 s[2:3], s[0:1]
	s_cbranch_execz .LBB0_16
; %bb.15:
	v_mov_b32_e32 v6, 0x42
	v_cndmask_b32_e64 v6, -11, v6, s[0:1]
	v_add_lshl_u32 v8, v0, v6, 1
	v_lshlrev_b64 v[6:7], 2, v[8:9]
	v_mov_b32_e32 v8, s9
	v_add_co_u32_e64 v6, s[0:1], s8, v6
	v_addc_co_u32_e64 v7, s[0:1], v8, v7, s[0:1]
	global_load_dwordx2 v[6:7], v[6:7], off offset:264
	s_waitcnt vmcnt(0)
	v_mul_f16_sdwa v8, v5, v6 dst_sel:DWORD dst_unused:UNUSED_PAD src0_sel:DWORD src1_sel:WORD_1
	v_mul_f16_sdwa v9, v18, v7 dst_sel:DWORD dst_unused:UNUSED_PAD src0_sel:DWORD src1_sel:WORD_1
	;; [unrolled: 1-line block ×4, first 2 shown]
	v_fma_f16 v8, v20, v6, -v8
	v_fma_f16 v9, v19, v7, -v9
	v_fma_f16 v5, v5, v6, v10
	v_fma_f16 v6, v18, v7, v11
	v_add_f16_e32 v7, v8, v9
	v_add_f16_e32 v13, v5, v6
	v_sub_f16_e32 v10, v5, v6
	v_add_f16_e32 v11, v12, v8
	v_sub_f16_e32 v8, v8, v9
	v_add_f16_e32 v5, v4, v5
	v_fma_f16 v7, v7, -0.5, v12
	v_fma_f16 v4, v13, -0.5, v4
	v_add_f16_e32 v9, v11, v9
	v_add_f16_e32 v5, v5, v6
	v_fma_f16 v6, v10, s4, v7
	v_fma_f16 v7, v10, s5, v7
	;; [unrolled: 1-line block ×4, first 2 shown]
	v_pack_b32_f16 v5, v5, v9
	v_pack_b32_f16 v4, v4, v7
	;; [unrolled: 1-line block ×3, first 2 shown]
	ds_write2_b32 v1, v5, v4 offset0:66 offset1:143
	ds_write_b32 v1, v6 offset:880
.LBB0_16:
	s_or_b64 exec, exec, s[2:3]
	s_waitcnt lgkmcnt(0)
	s_barrier
	s_and_saveexec_b64 s[0:1], vcc
	s_cbranch_execz .LBB0_18
; %bb.17:
	v_mov_b32_e32 v1, 0
	v_mov_b32_e32 v6, s13
	v_add_co_u32_e32 v2, vcc, s12, v2
	v_lshlrev_b64 v[0:1], 2, v[0:1]
	v_addc_co_u32_e32 v3, vcc, v6, v3, vcc
	ds_read2_b32 v[4:5], v16 offset1:33
	v_add_co_u32_e32 v0, vcc, v2, v0
	v_addc_co_u32_e32 v1, vcc, v3, v1, vcc
	ds_read2_b32 v[2:3], v16 offset0:66 offset1:99
	ds_read2_b32 v[6:7], v16 offset0:132 offset1:165
	s_waitcnt lgkmcnt(2)
	global_store_dword v[0:1], v4, off
	ds_read_b32 v4, v16 offset:792
	global_store_dword v[0:1], v5, off offset:132
	s_waitcnt lgkmcnt(2)
	global_store_dword v[0:1], v2, off offset:264
	global_store_dword v[0:1], v3, off offset:396
	s_waitcnt lgkmcnt(1)
	global_store_dword v[0:1], v6, off offset:528
	;; [unrolled: 3-line block ×3, first 2 shown]
.LBB0_18:
	s_endpgm
	.section	.rodata,"a",@progbits
	.p2align	6, 0x0
	.amdhsa_kernel fft_rtc_back_len231_factors_11_7_3_wgs_231_tpt_33_half_ip_CI_unitstride_sbrr_dirReg
		.amdhsa_group_segment_fixed_size 0
		.amdhsa_private_segment_fixed_size 0
		.amdhsa_kernarg_size 88
		.amdhsa_user_sgpr_count 6
		.amdhsa_user_sgpr_private_segment_buffer 1
		.amdhsa_user_sgpr_dispatch_ptr 0
		.amdhsa_user_sgpr_queue_ptr 0
		.amdhsa_user_sgpr_kernarg_segment_ptr 1
		.amdhsa_user_sgpr_dispatch_id 0
		.amdhsa_user_sgpr_flat_scratch_init 0
		.amdhsa_user_sgpr_private_segment_size 0
		.amdhsa_uses_dynamic_stack 0
		.amdhsa_system_sgpr_private_segment_wavefront_offset 0
		.amdhsa_system_sgpr_workgroup_id_x 1
		.amdhsa_system_sgpr_workgroup_id_y 0
		.amdhsa_system_sgpr_workgroup_id_z 0
		.amdhsa_system_sgpr_workgroup_info 0
		.amdhsa_system_vgpr_workitem_id 0
		.amdhsa_next_free_vgpr 63
		.amdhsa_next_free_sgpr 22
		.amdhsa_reserve_vcc 1
		.amdhsa_reserve_flat_scratch 0
		.amdhsa_float_round_mode_32 0
		.amdhsa_float_round_mode_16_64 0
		.amdhsa_float_denorm_mode_32 3
		.amdhsa_float_denorm_mode_16_64 3
		.amdhsa_dx10_clamp 1
		.amdhsa_ieee_mode 1
		.amdhsa_fp16_overflow 0
		.amdhsa_exception_fp_ieee_invalid_op 0
		.amdhsa_exception_fp_denorm_src 0
		.amdhsa_exception_fp_ieee_div_zero 0
		.amdhsa_exception_fp_ieee_overflow 0
		.amdhsa_exception_fp_ieee_underflow 0
		.amdhsa_exception_fp_ieee_inexact 0
		.amdhsa_exception_int_div_zero 0
	.end_amdhsa_kernel
	.text
.Lfunc_end0:
	.size	fft_rtc_back_len231_factors_11_7_3_wgs_231_tpt_33_half_ip_CI_unitstride_sbrr_dirReg, .Lfunc_end0-fft_rtc_back_len231_factors_11_7_3_wgs_231_tpt_33_half_ip_CI_unitstride_sbrr_dirReg
                                        ; -- End function
	.section	.AMDGPU.csdata,"",@progbits
; Kernel info:
; codeLenInByte = 5396
; NumSgprs: 26
; NumVgprs: 63
; ScratchSize: 0
; MemoryBound: 0
; FloatMode: 240
; IeeeMode: 1
; LDSByteSize: 0 bytes/workgroup (compile time only)
; SGPRBlocks: 3
; VGPRBlocks: 15
; NumSGPRsForWavesPerEU: 26
; NumVGPRsForWavesPerEU: 63
; Occupancy: 4
; WaveLimiterHint : 1
; COMPUTE_PGM_RSRC2:SCRATCH_EN: 0
; COMPUTE_PGM_RSRC2:USER_SGPR: 6
; COMPUTE_PGM_RSRC2:TRAP_HANDLER: 0
; COMPUTE_PGM_RSRC2:TGID_X_EN: 1
; COMPUTE_PGM_RSRC2:TGID_Y_EN: 0
; COMPUTE_PGM_RSRC2:TGID_Z_EN: 0
; COMPUTE_PGM_RSRC2:TIDIG_COMP_CNT: 0
	.type	__hip_cuid_da89b9ca82162784,@object ; @__hip_cuid_da89b9ca82162784
	.section	.bss,"aw",@nobits
	.globl	__hip_cuid_da89b9ca82162784
__hip_cuid_da89b9ca82162784:
	.byte	0                               ; 0x0
	.size	__hip_cuid_da89b9ca82162784, 1

	.ident	"AMD clang version 19.0.0git (https://github.com/RadeonOpenCompute/llvm-project roc-6.4.0 25133 c7fe45cf4b819c5991fe208aaa96edf142730f1d)"
	.section	".note.GNU-stack","",@progbits
	.addrsig
	.addrsig_sym __hip_cuid_da89b9ca82162784
	.amdgpu_metadata
---
amdhsa.kernels:
  - .args:
      - .actual_access:  read_only
        .address_space:  global
        .offset:         0
        .size:           8
        .value_kind:     global_buffer
      - .offset:         8
        .size:           8
        .value_kind:     by_value
      - .actual_access:  read_only
        .address_space:  global
        .offset:         16
        .size:           8
        .value_kind:     global_buffer
      - .actual_access:  read_only
        .address_space:  global
        .offset:         24
        .size:           8
        .value_kind:     global_buffer
      - .offset:         32
        .size:           8
        .value_kind:     by_value
      - .actual_access:  read_only
        .address_space:  global
        .offset:         40
        .size:           8
        .value_kind:     global_buffer
      - .actual_access:  read_only
        .address_space:  global
        .offset:         48
        .size:           8
        .value_kind:     global_buffer
      - .offset:         56
        .size:           4
        .value_kind:     by_value
      - .actual_access:  read_only
        .address_space:  global
        .offset:         64
        .size:           8
        .value_kind:     global_buffer
      - .actual_access:  read_only
        .address_space:  global
        .offset:         72
        .size:           8
        .value_kind:     global_buffer
      - .address_space:  global
        .offset:         80
        .size:           8
        .value_kind:     global_buffer
    .group_segment_fixed_size: 0
    .kernarg_segment_align: 8
    .kernarg_segment_size: 88
    .language:       OpenCL C
    .language_version:
      - 2
      - 0
    .max_flat_workgroup_size: 231
    .name:           fft_rtc_back_len231_factors_11_7_3_wgs_231_tpt_33_half_ip_CI_unitstride_sbrr_dirReg
    .private_segment_fixed_size: 0
    .sgpr_count:     26
    .sgpr_spill_count: 0
    .symbol:         fft_rtc_back_len231_factors_11_7_3_wgs_231_tpt_33_half_ip_CI_unitstride_sbrr_dirReg.kd
    .uniform_work_group_size: 1
    .uses_dynamic_stack: false
    .vgpr_count:     63
    .vgpr_spill_count: 0
    .wavefront_size: 64
amdhsa.target:   amdgcn-amd-amdhsa--gfx906
amdhsa.version:
  - 1
  - 2
...

	.end_amdgpu_metadata
